;; amdgpu-corpus repo=ROCm/rocFFT kind=compiled arch=gfx1201 opt=O3
	.text
	.amdgcn_target "amdgcn-amd-amdhsa--gfx1201"
	.amdhsa_code_object_version 6
	.protected	fft_rtc_back_len286_factors_13_11_2_wgs_52_tpt_26_sp_op_CI_CI_unitstride_sbrr_dirReg ; -- Begin function fft_rtc_back_len286_factors_13_11_2_wgs_52_tpt_26_sp_op_CI_CI_unitstride_sbrr_dirReg
	.globl	fft_rtc_back_len286_factors_13_11_2_wgs_52_tpt_26_sp_op_CI_CI_unitstride_sbrr_dirReg
	.p2align	8
	.type	fft_rtc_back_len286_factors_13_11_2_wgs_52_tpt_26_sp_op_CI_CI_unitstride_sbrr_dirReg,@function
fft_rtc_back_len286_factors_13_11_2_wgs_52_tpt_26_sp_op_CI_CI_unitstride_sbrr_dirReg: ; @fft_rtc_back_len286_factors_13_11_2_wgs_52_tpt_26_sp_op_CI_CI_unitstride_sbrr_dirReg
; %bb.0:
	s_clause 0x2
	s_load_b128 s[8:11], s[0:1], 0x0
	s_load_b128 s[4:7], s[0:1], 0x58
	;; [unrolled: 1-line block ×3, first 2 shown]
	v_mul_u32_u24_e32 v1, 0x9d9, v0
	v_mov_b32_e32 v3, 0
	s_delay_alu instid0(VALU_DEP_2) | instskip(SKIP_2) | instid1(VALU_DEP_4)
	v_lshrrev_b32_e32 v7, 16, v1
	v_mov_b32_e32 v1, 0
	v_mov_b32_e32 v2, 0
	;; [unrolled: 1-line block ×3, first 2 shown]
	s_delay_alu instid0(VALU_DEP_4) | instskip(SKIP_2) | instid1(VALU_DEP_1)
	v_lshl_add_u32 v5, ttmp9, 1, v7
	s_wait_kmcnt 0x0
	v_cmp_lt_u64_e64 s2, s[10:11], 2
	s_and_b32 vcc_lo, exec_lo, s2
	s_cbranch_vccnz .LBB0_8
; %bb.1:
	s_load_b64 s[2:3], s[0:1], 0x10
	v_mov_b32_e32 v1, 0
	v_mov_b32_e32 v2, 0
	s_add_nc_u64 s[16:17], s[14:15], 8
	s_add_nc_u64 s[18:19], s[12:13], 8
	s_mov_b64 s[20:21], 1
	s_delay_alu instid0(VALU_DEP_1)
	v_dual_mov_b32 v29, v2 :: v_dual_mov_b32 v28, v1
	s_wait_kmcnt 0x0
	s_add_nc_u64 s[22:23], s[2:3], 8
	s_mov_b32 s3, 0
.LBB0_2:                                ; =>This Inner Loop Header: Depth=1
	s_load_b64 s[24:25], s[22:23], 0x0
                                        ; implicit-def: $vgpr32_vgpr33
	s_mov_b32 s2, exec_lo
	s_wait_kmcnt 0x0
	v_or_b32_e32 v4, s25, v6
	s_delay_alu instid0(VALU_DEP_1)
	v_cmpx_ne_u64_e32 0, v[3:4]
	s_wait_alu 0xfffe
	s_xor_b32 s26, exec_lo, s2
	s_cbranch_execz .LBB0_4
; %bb.3:                                ;   in Loop: Header=BB0_2 Depth=1
	s_cvt_f32_u32 s2, s24
	s_cvt_f32_u32 s27, s25
	s_sub_nc_u64 s[30:31], 0, s[24:25]
	s_wait_alu 0xfffe
	s_delay_alu instid0(SALU_CYCLE_1) | instskip(SKIP_1) | instid1(SALU_CYCLE_2)
	s_fmamk_f32 s2, s27, 0x4f800000, s2
	s_wait_alu 0xfffe
	v_s_rcp_f32 s2, s2
	s_delay_alu instid0(TRANS32_DEP_1) | instskip(SKIP_1) | instid1(SALU_CYCLE_2)
	s_mul_f32 s2, s2, 0x5f7ffffc
	s_wait_alu 0xfffe
	s_mul_f32 s27, s2, 0x2f800000
	s_wait_alu 0xfffe
	s_delay_alu instid0(SALU_CYCLE_2) | instskip(SKIP_1) | instid1(SALU_CYCLE_2)
	s_trunc_f32 s27, s27
	s_wait_alu 0xfffe
	s_fmamk_f32 s2, s27, 0xcf800000, s2
	s_cvt_u32_f32 s29, s27
	s_wait_alu 0xfffe
	s_delay_alu instid0(SALU_CYCLE_1) | instskip(SKIP_1) | instid1(SALU_CYCLE_2)
	s_cvt_u32_f32 s28, s2
	s_wait_alu 0xfffe
	s_mul_u64 s[34:35], s[30:31], s[28:29]
	s_wait_alu 0xfffe
	s_mul_hi_u32 s37, s28, s35
	s_mul_i32 s36, s28, s35
	s_mul_hi_u32 s2, s28, s34
	s_mul_i32 s33, s29, s34
	s_wait_alu 0xfffe
	s_add_nc_u64 s[36:37], s[2:3], s[36:37]
	s_mul_hi_u32 s27, s29, s34
	s_mul_hi_u32 s38, s29, s35
	s_add_co_u32 s2, s36, s33
	s_wait_alu 0xfffe
	s_add_co_ci_u32 s2, s37, s27
	s_mul_i32 s34, s29, s35
	s_add_co_ci_u32 s35, s38, 0
	s_wait_alu 0xfffe
	s_add_nc_u64 s[34:35], s[2:3], s[34:35]
	s_wait_alu 0xfffe
	v_add_co_u32 v4, s2, s28, s34
	s_delay_alu instid0(VALU_DEP_1) | instskip(SKIP_1) | instid1(VALU_DEP_1)
	s_cmp_lg_u32 s2, 0
	s_add_co_ci_u32 s29, s29, s35
	v_readfirstlane_b32 s28, v4
	s_wait_alu 0xfffe
	s_delay_alu instid0(VALU_DEP_1)
	s_mul_u64 s[30:31], s[30:31], s[28:29]
	s_wait_alu 0xfffe
	s_mul_hi_u32 s35, s28, s31
	s_mul_i32 s34, s28, s31
	s_mul_hi_u32 s2, s28, s30
	s_mul_i32 s33, s29, s30
	s_wait_alu 0xfffe
	s_add_nc_u64 s[34:35], s[2:3], s[34:35]
	s_mul_hi_u32 s27, s29, s30
	s_mul_hi_u32 s28, s29, s31
	s_wait_alu 0xfffe
	s_add_co_u32 s2, s34, s33
	s_add_co_ci_u32 s2, s35, s27
	s_mul_i32 s30, s29, s31
	s_add_co_ci_u32 s31, s28, 0
	s_wait_alu 0xfffe
	s_add_nc_u64 s[30:31], s[2:3], s[30:31]
	s_wait_alu 0xfffe
	v_add_co_u32 v4, s2, v4, s30
	s_delay_alu instid0(VALU_DEP_1) | instskip(SKIP_1) | instid1(VALU_DEP_1)
	s_cmp_lg_u32 s2, 0
	s_add_co_ci_u32 s2, s29, s31
	v_mul_hi_u32 v14, v5, v4
	s_wait_alu 0xfffe
	v_mad_co_u64_u32 v[8:9], null, v5, s2, 0
	v_mad_co_u64_u32 v[10:11], null, v6, v4, 0
	;; [unrolled: 1-line block ×3, first 2 shown]
	s_delay_alu instid0(VALU_DEP_3) | instskip(SKIP_1) | instid1(VALU_DEP_4)
	v_add_co_u32 v4, vcc_lo, v14, v8
	s_wait_alu 0xfffd
	v_add_co_ci_u32_e32 v8, vcc_lo, 0, v9, vcc_lo
	s_delay_alu instid0(VALU_DEP_2) | instskip(SKIP_1) | instid1(VALU_DEP_2)
	v_add_co_u32 v4, vcc_lo, v4, v10
	s_wait_alu 0xfffd
	v_add_co_ci_u32_e32 v4, vcc_lo, v8, v11, vcc_lo
	s_wait_alu 0xfffd
	v_add_co_ci_u32_e32 v8, vcc_lo, 0, v13, vcc_lo
	s_delay_alu instid0(VALU_DEP_2) | instskip(SKIP_1) | instid1(VALU_DEP_2)
	v_add_co_u32 v4, vcc_lo, v4, v12
	s_wait_alu 0xfffd
	v_add_co_ci_u32_e32 v10, vcc_lo, 0, v8, vcc_lo
	s_delay_alu instid0(VALU_DEP_2) | instskip(SKIP_1) | instid1(VALU_DEP_3)
	v_mul_lo_u32 v11, s25, v4
	v_mad_co_u64_u32 v[8:9], null, s24, v4, 0
	v_mul_lo_u32 v12, s24, v10
	s_delay_alu instid0(VALU_DEP_2) | instskip(NEXT) | instid1(VALU_DEP_2)
	v_sub_co_u32 v8, vcc_lo, v5, v8
	v_add3_u32 v9, v9, v12, v11
	s_delay_alu instid0(VALU_DEP_1) | instskip(SKIP_1) | instid1(VALU_DEP_1)
	v_sub_nc_u32_e32 v11, v6, v9
	s_wait_alu 0xfffd
	v_subrev_co_ci_u32_e64 v11, s2, s25, v11, vcc_lo
	v_add_co_u32 v12, s2, v4, 2
	s_wait_alu 0xf1ff
	v_add_co_ci_u32_e64 v13, s2, 0, v10, s2
	v_sub_co_u32 v14, s2, v8, s24
	v_sub_co_ci_u32_e32 v9, vcc_lo, v6, v9, vcc_lo
	s_wait_alu 0xf1ff
	v_subrev_co_ci_u32_e64 v11, s2, 0, v11, s2
	s_delay_alu instid0(VALU_DEP_3) | instskip(NEXT) | instid1(VALU_DEP_3)
	v_cmp_le_u32_e32 vcc_lo, s24, v14
	v_cmp_eq_u32_e64 s2, s25, v9
	s_wait_alu 0xfffd
	v_cndmask_b32_e64 v14, 0, -1, vcc_lo
	v_cmp_le_u32_e32 vcc_lo, s25, v11
	s_wait_alu 0xfffd
	v_cndmask_b32_e64 v15, 0, -1, vcc_lo
	v_cmp_le_u32_e32 vcc_lo, s24, v8
	;; [unrolled: 3-line block ×3, first 2 shown]
	s_wait_alu 0xfffd
	v_cndmask_b32_e64 v16, 0, -1, vcc_lo
	v_cmp_eq_u32_e32 vcc_lo, s25, v11
	s_wait_alu 0xf1ff
	s_delay_alu instid0(VALU_DEP_2)
	v_cndmask_b32_e64 v8, v16, v8, s2
	s_wait_alu 0xfffd
	v_cndmask_b32_e32 v11, v15, v14, vcc_lo
	v_add_co_u32 v14, vcc_lo, v4, 1
	s_wait_alu 0xfffd
	v_add_co_ci_u32_e32 v15, vcc_lo, 0, v10, vcc_lo
	s_delay_alu instid0(VALU_DEP_3) | instskip(SKIP_2) | instid1(VALU_DEP_3)
	v_cmp_ne_u32_e32 vcc_lo, 0, v11
	s_wait_alu 0xfffd
	v_cndmask_b32_e32 v11, v14, v12, vcc_lo
	v_cndmask_b32_e32 v9, v15, v13, vcc_lo
	v_cmp_ne_u32_e32 vcc_lo, 0, v8
	s_wait_alu 0xfffd
	s_delay_alu instid0(VALU_DEP_2)
	v_dual_cndmask_b32 v32, v4, v11 :: v_dual_cndmask_b32 v33, v10, v9
.LBB0_4:                                ;   in Loop: Header=BB0_2 Depth=1
	s_wait_alu 0xfffe
	s_and_not1_saveexec_b32 s2, s26
	s_cbranch_execz .LBB0_6
; %bb.5:                                ;   in Loop: Header=BB0_2 Depth=1
	v_cvt_f32_u32_e32 v4, s24
	s_sub_co_i32 s26, 0, s24
	v_mov_b32_e32 v33, v3
	s_delay_alu instid0(VALU_DEP_2) | instskip(NEXT) | instid1(TRANS32_DEP_1)
	v_rcp_iflag_f32_e32 v4, v4
	v_mul_f32_e32 v4, 0x4f7ffffe, v4
	s_delay_alu instid0(VALU_DEP_1) | instskip(SKIP_1) | instid1(VALU_DEP_1)
	v_cvt_u32_f32_e32 v4, v4
	s_wait_alu 0xfffe
	v_mul_lo_u32 v8, s26, v4
	s_delay_alu instid0(VALU_DEP_1) | instskip(NEXT) | instid1(VALU_DEP_1)
	v_mul_hi_u32 v8, v4, v8
	v_add_nc_u32_e32 v4, v4, v8
	s_delay_alu instid0(VALU_DEP_1) | instskip(NEXT) | instid1(VALU_DEP_1)
	v_mul_hi_u32 v4, v5, v4
	v_mul_lo_u32 v8, v4, s24
	s_delay_alu instid0(VALU_DEP_1) | instskip(NEXT) | instid1(VALU_DEP_1)
	v_sub_nc_u32_e32 v8, v5, v8
	v_subrev_nc_u32_e32 v10, s24, v8
	v_cmp_le_u32_e32 vcc_lo, s24, v8
	s_wait_alu 0xfffd
	s_delay_alu instid0(VALU_DEP_2) | instskip(NEXT) | instid1(VALU_DEP_1)
	v_dual_cndmask_b32 v8, v8, v10 :: v_dual_add_nc_u32 v9, 1, v4
	v_cndmask_b32_e32 v4, v4, v9, vcc_lo
	s_delay_alu instid0(VALU_DEP_2) | instskip(NEXT) | instid1(VALU_DEP_2)
	v_cmp_le_u32_e32 vcc_lo, s24, v8
	v_add_nc_u32_e32 v9, 1, v4
	s_wait_alu 0xfffd
	s_delay_alu instid0(VALU_DEP_1)
	v_cndmask_b32_e32 v32, v4, v9, vcc_lo
.LBB0_6:                                ;   in Loop: Header=BB0_2 Depth=1
	s_wait_alu 0xfffe
	s_or_b32 exec_lo, exec_lo, s2
	v_mul_lo_u32 v4, v33, s24
	s_delay_alu instid0(VALU_DEP_2)
	v_mul_lo_u32 v10, v32, s25
	s_load_b64 s[26:27], s[18:19], 0x0
	v_mad_co_u64_u32 v[8:9], null, v32, s24, 0
	s_load_b64 s[24:25], s[16:17], 0x0
	s_add_nc_u64 s[20:21], s[20:21], 1
	s_add_nc_u64 s[16:17], s[16:17], 8
	s_wait_alu 0xfffe
	v_cmp_ge_u64_e64 s2, s[20:21], s[10:11]
	s_add_nc_u64 s[18:19], s[18:19], 8
	s_add_nc_u64 s[22:23], s[22:23], 8
	v_add3_u32 v4, v9, v10, v4
	v_sub_co_u32 v5, vcc_lo, v5, v8
	s_wait_alu 0xfffd
	s_delay_alu instid0(VALU_DEP_2) | instskip(SKIP_2) | instid1(VALU_DEP_1)
	v_sub_co_ci_u32_e32 v4, vcc_lo, v6, v4, vcc_lo
	s_and_b32 vcc_lo, exec_lo, s2
	s_wait_kmcnt 0x0
	v_mul_lo_u32 v6, s26, v4
	v_mul_lo_u32 v8, s27, v5
	v_mad_co_u64_u32 v[1:2], null, s26, v5, v[1:2]
	v_mul_lo_u32 v4, s24, v4
	v_mul_lo_u32 v9, s25, v5
	v_mad_co_u64_u32 v[28:29], null, s24, v5, v[28:29]
	s_delay_alu instid0(VALU_DEP_4) | instskip(NEXT) | instid1(VALU_DEP_2)
	v_add3_u32 v2, v8, v2, v6
	v_add3_u32 v29, v9, v29, v4
	s_wait_alu 0xfffe
	s_cbranch_vccnz .LBB0_9
; %bb.7:                                ;   in Loop: Header=BB0_2 Depth=1
	v_dual_mov_b32 v5, v32 :: v_dual_mov_b32 v6, v33
	s_branch .LBB0_2
.LBB0_8:
	v_dual_mov_b32 v29, v2 :: v_dual_mov_b32 v28, v1
	v_dual_mov_b32 v33, v6 :: v_dual_mov_b32 v32, v5
.LBB0_9:
	s_load_b64 s[0:1], s[0:1], 0x28
	v_and_b32_e32 v4, 1, v7
	v_mul_hi_u32 v3, 0x9d89d8a, v0
                                        ; implicit-def: $vgpr30
	s_wait_kmcnt 0x0
	v_cmp_gt_u64_e32 vcc_lo, s[0:1], v[32:33]
	v_cmp_le_u64_e64 s1, s[0:1], v[32:33]
	v_cmp_eq_u32_e64 s0, 1, v4
	s_delay_alu instid0(VALU_DEP_2)
	s_and_saveexec_b32 s2, s1
	s_wait_alu 0xfffe
	s_xor_b32 s1, exec_lo, s2
; %bb.10:
	v_mul_u32_u24_e32 v1, 26, v3
                                        ; implicit-def: $vgpr3
	s_delay_alu instid0(VALU_DEP_1)
	v_sub_nc_u32_e32 v30, v0, v1
                                        ; implicit-def: $vgpr0
                                        ; implicit-def: $vgpr1_vgpr2
; %bb.11:
	s_wait_alu 0xfffe
	s_or_saveexec_b32 s1, s1
	v_cndmask_b32_e64 v39, 0, 0x11e, s0
	s_lshl_b64 s[2:3], s[10:11], 3
	s_delay_alu instid0(VALU_DEP_1)
	v_lshlrev_b32_e32 v41, 3, v39
	s_wait_alu 0xfffe
	s_xor_b32 exec_lo, exec_lo, s1
	s_cbranch_execz .LBB0_13
; %bb.12:
	s_add_nc_u64 s[10:11], s[12:13], s[2:3]
	v_lshlrev_b64_e32 v[1:2], 3, v[1:2]
	s_load_b64 s[10:11], s[10:11], 0x0
	s_wait_kmcnt 0x0
	v_mul_lo_u32 v6, s11, v32
	v_mul_lo_u32 v7, s10, v33
	v_mad_co_u64_u32 v[4:5], null, s10, v32, 0
	s_delay_alu instid0(VALU_DEP_1) | instskip(SKIP_1) | instid1(VALU_DEP_2)
	v_add3_u32 v5, v5, v7, v6
	v_mul_u32_u24_e32 v6, 26, v3
	v_lshlrev_b64_e32 v[3:4], 3, v[4:5]
	s_delay_alu instid0(VALU_DEP_2) | instskip(NEXT) | instid1(VALU_DEP_1)
	v_sub_nc_u32_e32 v30, v0, v6
	v_lshlrev_b32_e32 v22, 3, v30
	s_delay_alu instid0(VALU_DEP_3) | instskip(SKIP_1) | instid1(VALU_DEP_4)
	v_add_co_u32 v0, s0, s4, v3
	s_wait_alu 0xf1ff
	v_add_co_ci_u32_e64 v3, s0, s5, v4, s0
	s_delay_alu instid0(VALU_DEP_2) | instskip(SKIP_1) | instid1(VALU_DEP_2)
	v_add_co_u32 v0, s0, v0, v1
	s_wait_alu 0xf1ff
	v_add_co_ci_u32_e64 v1, s0, v3, v2, s0
	s_delay_alu instid0(VALU_DEP_2) | instskip(SKIP_1) | instid1(VALU_DEP_2)
	v_add_co_u32 v0, s0, v0, v22
	s_wait_alu 0xf1ff
	v_add_co_ci_u32_e64 v1, s0, 0, v1, s0
	s_clause 0xa
	global_load_b64 v[2:3], v[0:1], off
	global_load_b64 v[4:5], v[0:1], off offset:208
	global_load_b64 v[6:7], v[0:1], off offset:416
	;; [unrolled: 1-line block ×10, first 2 shown]
	v_add3_u32 v22, 0, v41, v22
	s_wait_loadcnt 0x9
	ds_store_2addr_b64 v22, v[2:3], v[4:5] offset1:26
	s_wait_loadcnt 0x7
	ds_store_2addr_b64 v22, v[6:7], v[8:9] offset0:52 offset1:78
	s_wait_loadcnt 0x5
	ds_store_2addr_b64 v22, v[10:11], v[12:13] offset0:104 offset1:130
	;; [unrolled: 2-line block ×4, first 2 shown]
	s_wait_loadcnt 0x0
	ds_store_b64 v22, v[0:1] offset:2080
.LBB0_13:
	s_or_b32 exec_lo, exec_lo, s1
	v_lshlrev_b32_e32 v0, 3, v30
	global_wb scope:SCOPE_SE
	s_wait_dscnt 0x0
	s_barrier_signal -1
	s_barrier_wait -1
	global_inv scope:SCOPE_SE
	v_add_nc_u32_e32 v40, 0, v0
	s_add_nc_u64 s[2:3], s[14:15], s[2:3]
	s_mov_b32 s1, exec_lo
	s_delay_alu instid0(VALU_DEP_1)
	v_add_nc_u32_e32 v38, v40, v41
	ds_load_2addr_b64 v[16:19], v38 offset0:66 offset1:88
	ds_load_2addr_b64 v[8:11], v38 offset0:198 offset1:220
	;; [unrolled: 1-line block ×4, first 2 shown]
	s_wait_dscnt 0x2
	v_dual_add_f32 v34, v10, v16 :: v_dual_add_nc_u32 v37, 0, v41
	v_dual_sub_f32 v43, v18, v8 :: v_dual_add_nc_u32 v42, 0x400, v38
	v_sub_f32_e32 v53, v19, v9
	v_add_f32_e32 v57, v9, v19
	s_delay_alu instid0(VALU_DEP_4)
	v_dual_add_f32 v54, v11, v17 :: v_dual_add_nc_u32 v31, v37, v0
	ds_load_2addr_b64 v[24:27], v38 offset0:22 offset1:44
	ds_load_2addr_b64 v[4:7], v42 offset0:114 offset1:136
	ds_load_b64 v[0:1], v31
	s_wait_dscnt 0x3
	v_sub_f32_e32 v46, v20, v14
	v_dual_sub_f32 v52, v17, v11 :: v_dual_add_f32 v45, v12, v22
	v_dual_sub_f32 v56, v23, v13 :: v_dual_sub_f32 v35, v16, v10
	v_dual_add_f32 v36, v8, v18 :: v_dual_sub_f32 v55, v21, v15
	v_dual_add_f32 v58, v15, v21 :: v_dual_sub_f32 v47, v22, v12
	v_dual_add_f32 v44, v14, v20 :: v_dual_add_f32 v59, v13, v23
	global_wb scope:SCOPE_SE
	s_wait_dscnt 0x0
	v_mul_f32_e32 v69, 0x3df6dbef, v58
	s_barrier_signal -1
	v_mul_f32_e32 v65, 0x3f29c268, v53
	s_barrier_wait -1
	global_inv scope:SCOPE_SE
	v_dual_sub_f32 v61, v25, v7 :: v_dual_sub_f32 v50, v26, v4
	v_add_f32_e32 v49, v6, v24
	v_dual_add_f32 v63, v7, v25 :: v_dual_add_f32 v48, v4, v26
	v_add_f32_e32 v62, v5, v27
	v_sub_f32_e32 v60, v27, v5
	v_mul_f32_e32 v73, 0xbf52af12, v61
	s_delay_alu instid0(VALU_DEP_4)
	v_mul_f32_e32 v75, 0x3f116cb1, v63
	v_sub_f32_e32 v51, v24, v6
	v_mul_f32_e32 v74, 0xbeb58ec6, v62
	v_mul_f32_e32 v72, 0xbf6f5d39, v60
	v_fma_f32 v2, 0x3f116cb1, v49, -v73
	v_mul_f32_e32 v64, 0x3f7e222b, v55
	v_fma_f32 v78, 0xbf3f9e67, v36, -v65
	v_fmamk_f32 v71, v50, 0xbf6f5d39, v74
	v_fma_f32 v66, 0xbeb58ec6, v48, -v72
	v_dual_add_f32 v2, v0, v2 :: v_dual_mul_f32 v67, 0xbf3f9e67, v57
	s_delay_alu instid0(VALU_DEP_1) | instskip(NEXT) | instid1(VALU_DEP_1)
	v_dual_add_f32 v2, v66, v2 :: v_dual_fmamk_f32 v3, v51, 0xbf52af12, v75
	v_dual_mul_f32 v68, 0xbe750f2a, v52 :: v_dual_add_f32 v3, v1, v3
	v_mul_f32_e32 v70, 0xbf788fa5, v54
	s_delay_alu instid0(VALU_DEP_2) | instskip(NEXT) | instid1(VALU_DEP_1)
	v_fma_f32 v76, 0xbf788fa5, v34, -v68
	v_dual_add_f32 v3, v71, v3 :: v_dual_add_f32 v2, v76, v2
	s_delay_alu instid0(VALU_DEP_1) | instskip(NEXT) | instid1(VALU_DEP_1)
	v_dual_fmamk_f32 v77, v35, 0xbe750f2a, v70 :: v_dual_add_f32 v2, v78, v2
	v_add_f32_e32 v3, v77, v3
	v_fmamk_f32 v77, v46, 0x3f7e222b, v69
	v_fma_f32 v76, 0x3df6dbef, v44, -v64
	s_delay_alu instid0(VALU_DEP_1) | instskip(NEXT) | instid1(VALU_DEP_1)
	v_dual_fmamk_f32 v79, v43, 0x3f29c268, v67 :: v_dual_add_f32 v2, v76, v2
	v_dual_mul_f32 v66, 0x3eedf032, v56 :: v_dual_add_f32 v3, v79, v3
	s_delay_alu instid0(VALU_DEP_1) | instskip(SKIP_1) | instid1(VALU_DEP_2)
	v_fma_f32 v78, 0x3f62ad3f, v45, -v66
	v_mul_f32_e32 v71, 0x3f62ad3f, v59
	v_dual_add_f32 v3, v77, v3 :: v_dual_add_f32 v2, v78, v2
	s_delay_alu instid0(VALU_DEP_2) | instskip(NEXT) | instid1(VALU_DEP_1)
	v_fmamk_f32 v79, v47, 0x3eedf032, v71
	v_add_f32_e32 v3, v79, v3
	v_cmpx_gt_u32_e32 22, v30
	s_cbranch_execz .LBB0_15
; %bb.14:
	v_dual_mul_f32 v79, 0xbf7e222b, v51 :: v_dual_mul_f32 v84, 0xbf7e222b, v61
	v_mul_f32_e32 v86, 0xbe750f2a, v60
	v_mul_f32_e32 v87, 0x3f6f5d39, v52
	;; [unrolled: 1-line block ×3, first 2 shown]
	v_dual_mul_f32 v105, 0x3eedf032, v55 :: v_dual_mul_f32 v114, 0x3eedf032, v52
	s_delay_alu instid0(VALU_DEP_4)
	v_fma_f32 v89, 0xbf788fa5, v48, -v86
	v_mul_f32_e32 v80, 0xbe750f2a, v50
	v_fma_f32 v92, 0xbeb58ec6, v34, -v87
	v_fmamk_f32 v76, v63, 0x3df6dbef, v79
	v_mul_f32_e32 v81, 0x3f6f5d39, v35
	v_fma_f32 v78, 0x3df6dbef, v49, -v84
	v_fmamk_f32 v77, v62, 0xbf788fa5, v80
	v_mul_f32_e32 v82, 0x3eedf032, v43
	v_dual_add_f32 v76, v1, v76 :: v_dual_mul_f32 v83, 0xbf52af12, v46
	v_fmac_f32_e32 v84, 0x3df6dbef, v49
	v_mul_f32_e32 v116, 0xbf788fa5, v58
	v_mul_f32_e32 v110, 0x3f62ad3f, v54
	s_delay_alu instid0(VALU_DEP_4) | instskip(SKIP_3) | instid1(VALU_DEP_4)
	v_dual_add_f32 v76, v77, v76 :: v_dual_add_f32 v77, v0, v78
	v_fmamk_f32 v91, v57, 0x3f62ad3f, v82
	v_fmamk_f32 v88, v54, 0xbeb58ec6, v81
	v_mul_f32_e32 v85, 0xbf29c268, v47
	v_dual_mul_f32 v78, 0xbf788fa5, v63 :: v_dual_add_f32 v77, v89, v77
	s_delay_alu instid0(VALU_DEP_3) | instskip(SKIP_1) | instid1(VALU_DEP_3)
	v_dual_add_f32 v25, v1, v25 :: v_dual_add_f32 v76, v88, v76
	v_mul_f32_e32 v90, 0x3eedf032, v53
	v_dual_fmamk_f32 v93, v51, 0x3e750f2a, v78 :: v_dual_add_f32 v24, v0, v24
	s_delay_alu instid0(VALU_DEP_4) | instskip(NEXT) | instid1(VALU_DEP_2)
	v_dual_add_f32 v77, v92, v77 :: v_dual_mul_f32 v92, 0xbf52af12, v55
	v_dual_fmamk_f32 v88, v58, 0x3f116cb1, v83 :: v_dual_add_f32 v93, v1, v93
	v_dual_add_f32 v91, v91, v76 :: v_dual_mul_f32 v76, 0x3f62ad3f, v62
	v_add_f32_e32 v27, v25, v27
	v_fma_f32 v89, 0x3f62ad3f, v36, -v90
	v_dual_mul_f32 v95, 0xbf29c268, v56 :: v_dual_add_f32 v26, v24, v26
	s_delay_alu instid0(VALU_DEP_4) | instskip(SKIP_1) | instid1(VALU_DEP_4)
	v_add_f32_e32 v88, v88, v91
	v_fma_f32 v91, 0x3f116cb1, v44, -v92
	v_dual_add_f32 v89, v89, v77 :: v_dual_fmamk_f32 v94, v50, 0xbeedf032, v76
	v_dual_mul_f32 v77, 0xbf3f9e67, v54 :: v_dual_fmamk_f32 v24, v59, 0xbf3f9e67, v85
	v_mul_f32_e32 v96, 0x3f116cb1, v57
	s_delay_alu instid0(VALU_DEP_3) | instskip(NEXT) | instid1(VALU_DEP_3)
	v_add_f32_e32 v89, v91, v89
	v_dual_add_f32 v93, v94, v93 :: v_dual_fmamk_f32 v94, v35, 0x3f29c268, v77
	v_fma_f32 v91, 0xbf3f9e67, v45, -v95
	v_dual_add_f32 v25, v24, v88 :: v_dual_fmamk_f32 v88, v49, 0xbf788fa5, v97
	v_add_f32_e32 v17, v27, v17
	s_delay_alu instid0(VALU_DEP_4) | instskip(NEXT) | instid1(VALU_DEP_4)
	v_dual_add_f32 v93, v94, v93 :: v_dual_fmamk_f32 v94, v43, 0xbf52af12, v96
	v_dual_mul_f32 v99, 0x3eedf032, v60 :: v_dual_add_f32 v24, v91, v89
	v_mul_f32_e32 v98, 0xbeb58ec6, v58
	s_delay_alu instid0(VALU_DEP_3) | instskip(NEXT) | instid1(VALU_DEP_3)
	v_dual_add_f32 v88, v0, v88 :: v_dual_add_f32 v89, v94, v93
	v_dual_fmamk_f32 v93, v48, 0x3f62ad3f, v99 :: v_dual_add_f32 v16, v26, v16
	s_delay_alu instid0(VALU_DEP_3) | instskip(SKIP_1) | instid1(VALU_DEP_3)
	v_fmamk_f32 v91, v46, 0x3f6f5d39, v98
	v_add_f32_e32 v17, v17, v19
	v_dual_fmac_f32 v87, 0xbeb58ec6, v34 :: v_dual_add_f32 v88, v93, v88
	s_delay_alu instid0(VALU_DEP_3) | instskip(SKIP_1) | instid1(VALU_DEP_2)
	v_dual_mul_f32 v26, 0xbf29c268, v52 :: v_dual_add_f32 v27, v91, v89
	v_dual_add_f32 v16, v16, v18 :: v_dual_mul_f32 v89, 0x3f52af12, v53
	v_dual_add_f32 v17, v17, v21 :: v_dual_fmamk_f32 v18, v34, 0xbf3f9e67, v26
	s_delay_alu instid0(VALU_DEP_2) | instskip(NEXT) | instid1(VALU_DEP_3)
	v_dual_mul_f32 v91, 0x3df6dbef, v59 :: v_dual_add_f32 v16, v16, v20
	v_fmamk_f32 v19, v36, 0x3f116cb1, v89
	s_delay_alu instid0(VALU_DEP_3) | instskip(NEXT) | instid1(VALU_DEP_3)
	v_dual_mul_f32 v21, 0xbf3f9e67, v63 :: v_dual_add_f32 v18, v18, v88
	v_dual_add_f32 v17, v17, v23 :: v_dual_fmamk_f32 v20, v47, 0xbf7e222b, v91
	s_delay_alu instid0(VALU_DEP_4) | instskip(SKIP_1) | instid1(VALU_DEP_3)
	v_add_f32_e32 v16, v16, v22
	v_mul_f32_e32 v88, 0x3f116cb1, v54
	v_dual_add_f32 v18, v19, v18 :: v_dual_add_f32 v13, v17, v13
	s_delay_alu instid0(VALU_DEP_3) | instskip(SKIP_1) | instid1(VALU_DEP_3)
	v_dual_fmamk_f32 v19, v51, 0x3f29c268, v21 :: v_dual_add_f32 v12, v16, v12
	v_mul_f32_e32 v23, 0x3df6dbef, v62
	v_dual_mul_f32 v108, 0xbf3f9e67, v62 :: v_dual_add_f32 v13, v13, v15
	s_delay_alu instid0(VALU_DEP_3) | instskip(NEXT) | instid1(VALU_DEP_3)
	v_dual_add_f32 v17, v1, v19 :: v_dual_add_f32 v14, v12, v14
	v_dual_add_f32 v12, v20, v27 :: v_dual_fmamk_f32 v15, v50, 0xbf7e222b, v23
	v_mul_f32_e32 v22, 0xbf6f5d39, v55
	s_delay_alu instid0(VALU_DEP_3) | instskip(SKIP_1) | instid1(VALU_DEP_3)
	v_dual_mul_f32 v27, 0xbf29c268, v61 :: v_dual_add_f32 v8, v14, v8
	v_add_f32_e32 v9, v13, v9
	v_dual_add_f32 v15, v15, v17 :: v_dual_fmamk_f32 v16, v44, 0xbeb58ec6, v22
	s_delay_alu instid0(VALU_DEP_3) | instskip(SKIP_1) | instid1(VALU_DEP_3)
	v_dual_fmamk_f32 v17, v35, 0x3f52af12, v88 :: v_dual_add_f32 v10, v8, v10
	v_mul_f32_e32 v93, 0x3f7e222b, v56
	v_dual_fmamk_f32 v13, v49, 0xbf3f9e67, v27 :: v_dual_add_f32 v16, v16, v18
	s_delay_alu instid0(VALU_DEP_3) | instskip(NEXT) | instid1(VALU_DEP_2)
	v_dual_add_f32 v14, v17, v15 :: v_dual_mul_f32 v111, 0xbf6f5d39, v56
	v_dual_fmamk_f32 v18, v45, 0x3df6dbef, v93 :: v_dual_add_f32 v13, v0, v13
	v_mul_f32_e32 v94, 0x3f7e222b, v60
	v_add_f32_e32 v102, v9, v11
	s_delay_alu instid0(VALU_DEP_4)
	v_fmamk_f32 v17, v45, 0xbeb58ec6, v111
	v_mul_f32_e32 v107, 0xbeb58ec6, v63
	v_add_f32_e32 v19, v0, v84
	v_fmamk_f32 v15, v48, 0x3df6dbef, v94
	v_fmac_f32_e32 v86, 0xbf788fa5, v48
	v_mul_f32_e32 v106, 0xbeb58ec6, v59
	v_mul_f32_e32 v109, 0xbf6f5d39, v61
	;; [unrolled: 1-line block ×3, first 2 shown]
	v_add_f32_e32 v11, v15, v13
	v_fmamk_f32 v15, v51, 0x3f6f5d39, v107
	v_mul_f32_e32 v101, 0xbf52af12, v52
	v_fmac_f32_e32 v90, 0x3f62ad3f, v36
	v_mul_f32_e32 v115, 0xbf7e222b, v53
	v_fmac_f32_e32 v95, 0xbf3f9e67, v45
	v_mul_f32_e32 v61, 0xbeedf032, v61
	v_fmamk_f32 v13, v34, 0x3f116cb1, v101
	v_mul_f32_e32 v100, 0xbf788fa5, v57
	v_fmac_f32_e32 v78, 0xbe750f2a, v51
	v_fmac_f32_e32 v76, 0x3eedf032, v50
	s_delay_alu instid0(VALU_DEP_4) | instskip(NEXT) | instid1(VALU_DEP_4)
	v_dual_mul_f32 v52, 0xbf7e222b, v52 :: v_dual_add_f32 v11, v13, v11
	v_fmamk_f32 v9, v43, 0xbe750f2a, v100
	v_mul_f32_e32 v104, 0x3e750f2a, v53
	v_dual_mul_f32 v53, 0xbf6f5d39, v53 :: v_dual_add_f32 v4, v10, v4
	v_fma_f32 v22, 0xbeb58ec6, v44, -v22
	s_delay_alu instid0(VALU_DEP_4) | instskip(SKIP_4) | instid1(VALU_DEP_4)
	v_add_f32_e32 v8, v9, v14
	v_mul_f32_e32 v103, 0x3f62ad3f, v58
	v_fmamk_f32 v13, v36, 0xbf788fa5, v104
	v_fmac_f32_e32 v77, 0xbf29c268, v35
	v_dual_add_f32 v5, v102, v5 :: v_dual_fmac_f32 v98, 0xbf6f5d39, v46
	v_fmamk_f32 v9, v46, 0xbeedf032, v103
	v_fma_f32 v26, 0xbf3f9e67, v34, -v26
	v_fmac_f32_e32 v21, 0xbf29c268, v51
	v_fmac_f32_e32 v23, 0x3f7e222b, v50
	;; [unrolled: 1-line block ×3, first 2 shown]
	v_add_f32_e32 v8, v9, v8
	v_add_f32_e32 v9, v13, v11
	v_fmamk_f32 v13, v44, 0x3f62ad3f, v105
	v_dual_add_f32 v11, v18, v16 :: v_dual_fmamk_f32 v14, v47, 0x3f6f5d39, v106
	v_fmamk_f32 v18, v43, 0x3f7e222b, v113
	s_delay_alu instid0(VALU_DEP_3) | instskip(SKIP_1) | instid1(VALU_DEP_4)
	v_dual_mul_f32 v112, 0x3f29c268, v60 :: v_dual_add_f32 v13, v13, v9
	v_add_f32_e32 v21, v1, v21
	v_dual_add_f32 v9, v14, v8 :: v_dual_add_f32 v8, v1, v15
	s_delay_alu instid0(VALU_DEP_3) | instskip(SKIP_1) | instid1(VALU_DEP_4)
	v_fmamk_f32 v16, v48, 0xbf3f9e67, v112
	v_fmamk_f32 v15, v49, 0xbeb58ec6, v109
	v_dual_fmamk_f32 v14, v50, 0xbf29c268, v108 :: v_dual_add_f32 v21, v23, v21
	v_dual_fmac_f32 v108, 0x3f29c268, v50 :: v_dual_add_f32 v5, v5, v7
	s_delay_alu instid0(VALU_DEP_2) | instskip(SKIP_3) | instid1(VALU_DEP_4)
	v_dual_add_f32 v15, v0, v15 :: v_dual_add_f32 v8, v14, v8
	v_fmac_f32_e32 v103, 0x3eedf032, v46
	v_fmac_f32_e32 v91, 0x3f7e222b, v47
	;; [unrolled: 1-line block ×3, first 2 shown]
	v_dual_add_f32 v15, v16, v15 :: v_dual_fmamk_f32 v14, v35, 0xbeedf032, v110
	v_fmamk_f32 v16, v34, 0x3f62ad3f, v114
	v_mul_f32_e32 v60, 0xbf52af12, v60
	v_add_f32_e32 v4, v4, v6
	v_fmac_f32_e32 v100, 0x3e750f2a, v43
	v_add_f32_e32 v14, v14, v8
	v_dual_add_f32 v8, v17, v13 :: v_dual_fmamk_f32 v17, v46, 0xbe750f2a, v116
	v_fmac_f32_e32 v110, 0x3eedf032, v35
	s_delay_alu instid0(VALU_DEP_3)
	v_dual_fmac_f32 v106, 0xbf6f5d39, v47 :: v_dual_add_f32 v13, v18, v14
	v_add_f32_e32 v14, v16, v15
	v_fmamk_f32 v15, v36, 0x3df6dbef, v115
	v_fma_f32 v16, 0x3df6dbef, v63, -v79
	v_mul_f32_e32 v79, 0x3e750f2a, v55
	v_add_f32_e32 v13, v17, v13
	s_delay_alu instid0(VALU_DEP_4) | instskip(NEXT) | instid1(VALU_DEP_4)
	v_dual_mul_f32 v55, 0xbf29c268, v55 :: v_dual_add_f32 v14, v15, v14
	v_add_f32_e32 v15, v1, v16
	v_fma_f32 v16, 0xbf788fa5, v62, -v80
	v_fmamk_f32 v18, v44, 0xbf788fa5, v79
	v_mul_f32_e32 v62, 0x3f116cb1, v62
	s_delay_alu instid0(VALU_DEP_3) | instskip(SKIP_1) | instid1(VALU_DEP_4)
	v_dual_fmac_f32 v116, 0x3e750f2a, v46 :: v_dual_add_f32 v15, v16, v15
	v_fma_f32 v16, 0xbeb58ec6, v54, -v81
	v_add_f32_e32 v17, v18, v14
	v_dual_add_f32 v14, v86, v19 :: v_dual_mul_f32 v81, 0x3f52af12, v56
	v_mul_f32_e32 v80, 0x3f116cb1, v59
	v_mul_f32_e32 v54, 0x3df6dbef, v54
	;; [unrolled: 1-line block ×3, first 2 shown]
	s_delay_alu instid0(VALU_DEP_4) | instskip(NEXT) | instid1(VALU_DEP_4)
	v_dual_add_f32 v14, v87, v14 :: v_dual_fmamk_f32 v19, v45, 0x3f116cb1, v81
	v_dual_add_f32 v15, v16, v15 :: v_dual_fmamk_f32 v18, v47, 0xbf52af12, v80
	v_fma_f32 v16, 0x3f62ad3f, v57, -v82
	v_fmac_f32_e32 v80, 0x3f52af12, v47
	s_delay_alu instid0(VALU_DEP_2)
	v_add_f32_e32 v15, v16, v15
	v_fma_f32 v16, 0x3f116cb1, v58, -v83
	v_add_f32_e32 v20, v90, v14
	v_fmac_f32_e32 v92, 0x3f116cb1, v44
	v_add_f32_e32 v14, v18, v13
	v_dual_add_f32 v13, v19, v17 :: v_dual_mul_f32 v18, 0xbf52af12, v51
	v_add_f32_e32 v15, v16, v15
	s_delay_alu instid0(VALU_DEP_4) | instskip(NEXT) | instid1(VALU_DEP_3)
	v_dual_add_f32 v17, v92, v20 :: v_dual_mul_f32 v20, 0xbf6f5d39, v50
	v_dual_mul_f32 v19, 0x3f116cb1, v49 :: v_dual_sub_f32 v18, v75, v18
	v_fma_f32 v16, 0xbf3f9e67, v59, -v85
	v_mul_f32_e32 v58, 0xbf3f9e67, v58
	s_delay_alu instid0(VALU_DEP_3) | instskip(NEXT) | instid1(VALU_DEP_4)
	v_dual_sub_f32 v20, v74, v20 :: v_dual_add_f32 v19, v19, v73
	v_dual_add_f32 v18, v1, v18 :: v_dual_mul_f32 v73, 0xbe750f2a, v35
	s_delay_alu instid0(VALU_DEP_4) | instskip(NEXT) | instid1(VALU_DEP_2)
	v_dual_add_f32 v16, v16, v15 :: v_dual_add_f32 v15, v95, v17
	v_add_f32_e32 v18, v20, v18
	s_delay_alu instid0(VALU_DEP_3) | instskip(SKIP_2) | instid1(VALU_DEP_3)
	v_sub_f32_e32 v20, v70, v73
	v_mul_f32_e32 v70, 0x3f29c268, v43
	v_add_f32_e32 v19, v0, v19
	v_add_f32_e32 v18, v20, v18
	s_delay_alu instid0(VALU_DEP_3) | instskip(SKIP_1) | instid1(VALU_DEP_2)
	v_dual_sub_f32 v20, v67, v70 :: v_dual_mul_f32 v17, 0xbeb58ec6, v48
	v_mul_f32_e32 v67, 0x3f7e222b, v46
	v_add_f32_e32 v18, v20, v18
	s_delay_alu instid0(VALU_DEP_2) | instskip(SKIP_2) | instid1(VALU_DEP_3)
	v_sub_f32_e32 v20, v69, v67
	v_mul_f32_e32 v67, 0x3eedf032, v47
	v_dual_add_f32 v17, v17, v72 :: v_dual_mul_f32 v72, 0xbf788fa5, v34
	v_add_f32_e32 v18, v20, v18
	s_delay_alu instid0(VALU_DEP_3) | instskip(NEXT) | instid1(VALU_DEP_3)
	v_sub_f32_e32 v20, v71, v67
	v_add_f32_e32 v17, v17, v19
	s_delay_alu instid0(VALU_DEP_4) | instskip(SKIP_1) | instid1(VALU_DEP_4)
	v_add_f32_e32 v19, v72, v68
	v_dual_mul_f32 v68, 0xbf3f9e67, v36 :: v_dual_add_f32 v67, v1, v78
	v_dual_add_f32 v18, v20, v18 :: v_dual_mul_f32 v57, 0xbeb58ec6, v57
	s_delay_alu instid0(VALU_DEP_3) | instskip(NEXT) | instid1(VALU_DEP_3)
	v_add_f32_e32 v17, v19, v17
	v_add_f32_e32 v19, v68, v65
	v_mul_f32_e32 v65, 0x3df6dbef, v44
	v_fma_f32 v68, 0x3f62ad3f, v48, -v99
	s_delay_alu instid0(VALU_DEP_3) | instskip(NEXT) | instid1(VALU_DEP_3)
	v_add_f32_e32 v17, v19, v17
	v_dual_add_f32 v19, v65, v64 :: v_dual_mul_f32 v64, 0x3f62ad3f, v45
	v_fmamk_f32 v65, v48, 0x3f116cb1, v60
	s_delay_alu instid0(VALU_DEP_2) | instskip(SKIP_2) | instid1(VALU_DEP_3)
	v_dual_add_f32 v17, v19, v17 :: v_dual_add_f32 v20, v64, v66
	v_fmamk_f32 v64, v50, 0x3f52af12, v62
	v_fmamk_f32 v66, v44, 0xbf3f9e67, v55
	v_dual_fmac_f32 v62, 0xbf52af12, v50 :: v_dual_add_f32 v17, v20, v17
	v_fmamk_f32 v20, v49, 0x3f62ad3f, v61
	s_delay_alu instid0(VALU_DEP_1) | instskip(NEXT) | instid1(VALU_DEP_1)
	v_dual_add_f32 v20, v0, v20 :: v_dual_mul_f32 v63, 0x3f62ad3f, v63
	v_dual_add_f32 v20, v65, v20 :: v_dual_fmamk_f32 v65, v34, 0x3df6dbef, v52
	s_delay_alu instid0(VALU_DEP_1) | instskip(NEXT) | instid1(VALU_DEP_1)
	v_dual_fmamk_f32 v19, v51, 0x3eedf032, v63 :: v_dual_add_f32 v20, v65, v20
	v_add_f32_e32 v19, v1, v19
	v_fmamk_f32 v65, v36, 0xbeb58ec6, v53
	s_delay_alu instid0(VALU_DEP_2) | instskip(NEXT) | instid1(VALU_DEP_2)
	v_dual_add_f32 v19, v64, v19 :: v_dual_fmamk_f32 v64, v35, 0x3f7e222b, v54
	v_add_f32_e32 v65, v65, v20
	v_mul_f32_e32 v59, 0xbf788fa5, v59
	v_fmac_f32_e32 v54, 0xbf7e222b, v35
	s_delay_alu instid0(VALU_DEP_4) | instskip(NEXT) | instid1(VALU_DEP_1)
	v_dual_add_f32 v19, v64, v19 :: v_dual_fmamk_f32 v64, v43, 0x3f6f5d39, v57
	v_dual_add_f32 v19, v64, v19 :: v_dual_fmamk_f32 v64, v46, 0x3f29c268, v58
	s_delay_alu instid0(VALU_DEP_1) | instskip(SKIP_1) | instid1(VALU_DEP_1)
	v_dual_fmac_f32 v58, 0xbf29c268, v46 :: v_dual_add_f32 v19, v64, v19
	v_fmamk_f32 v64, v47, 0x3e750f2a, v59
	v_add_f32_e32 v20, v64, v19
	v_fma_f32 v19, 0xbf788fa5, v49, -v97
	v_dual_add_f32 v64, v66, v65 :: v_dual_fmamk_f32 v65, v45, 0xbf788fa5, v56
	v_add_f32_e32 v66, v76, v67
	v_fmac_f32_e32 v57, 0xbf6f5d39, v43
	s_delay_alu instid0(VALU_DEP_4) | instskip(SKIP_2) | instid1(VALU_DEP_3)
	v_add_f32_e32 v67, v0, v19
	v_fmac_f32_e32 v59, 0xbe750f2a, v47
	v_add_f32_e32 v19, v65, v64
	v_add_f32_e32 v65, v68, v67
	s_delay_alu instid0(VALU_DEP_1) | instskip(SKIP_1) | instid1(VALU_DEP_1)
	v_add_f32_e32 v10, v26, v65
	v_fma_f32 v26, 0x3f116cb1, v36, -v89
	v_add_f32_e32 v10, v26, v10
	v_fma_f32 v26, 0x3df6dbef, v48, -v94
	s_delay_alu instid0(VALU_DEP_2) | instskip(SKIP_2) | instid1(VALU_DEP_2)
	v_add_f32_e32 v10, v22, v10
	v_add_f32_e32 v64, v77, v66
	v_fma_f32 v22, 0x3df6dbef, v45, -v93
	v_add_f32_e32 v7, v96, v64
	s_delay_alu instid0(VALU_DEP_1) | instskip(NEXT) | instid1(VALU_DEP_1)
	v_add_f32_e32 v6, v98, v7
	v_add_f32_e32 v7, v91, v6
	v_fma_f32 v6, 0xbf3f9e67, v49, -v27
	v_fma_f32 v27, 0xbf3f9e67, v48, -v112
	s_delay_alu instid0(VALU_DEP_2) | instskip(SKIP_3) | instid1(VALU_DEP_4)
	v_add_f32_e32 v23, v0, v6
	v_add_f32_e32 v6, v22, v10
	;; [unrolled: 1-line block ×3, first 2 shown]
	v_fma_f32 v22, 0x3f116cb1, v34, -v101
	v_add_f32_e32 v21, v26, v23
	v_fma_f32 v26, 0x3f62ad3f, v44, -v105
	s_delay_alu instid0(VALU_DEP_2) | instskip(SKIP_1) | instid1(VALU_DEP_2)
	v_dual_add_f32 v10, v100, v10 :: v_dual_add_f32 v21, v22, v21
	v_fma_f32 v22, 0xbf788fa5, v36, -v104
	v_dual_add_f32 v10, v103, v10 :: v_dual_fmac_f32 v107, 0xbf6f5d39, v51
	s_delay_alu instid0(VALU_DEP_2) | instskip(NEXT) | instid1(VALU_DEP_2)
	v_add_f32_e32 v21, v22, v21
	v_add_f32_e32 v22, v106, v10
	v_fma_f32 v10, 0xbeb58ec6, v49, -v109
	s_delay_alu instid0(VALU_DEP_4) | instskip(NEXT) | instid1(VALU_DEP_4)
	v_add_f32_e32 v23, v1, v107
	v_add_f32_e32 v21, v26, v21
	v_fma_f32 v26, 0xbeb58ec6, v45, -v111
	s_delay_alu instid0(VALU_DEP_4) | instskip(NEXT) | instid1(VALU_DEP_4)
	v_add_f32_e32 v10, v0, v10
	v_add_f32_e32 v23, v108, v23
	s_delay_alu instid0(VALU_DEP_3) | instskip(SKIP_1) | instid1(VALU_DEP_4)
	v_add_f32_e32 v21, v26, v21
	v_fma_f32 v26, 0x3f62ad3f, v49, -v61
	v_add_f32_e32 v10, v27, v10
	v_fma_f32 v27, 0x3f62ad3f, v34, -v114
	s_delay_alu instid0(VALU_DEP_3) | instskip(SKIP_1) | instid1(VALU_DEP_3)
	v_dual_add_f32 v23, v110, v23 :: v_dual_add_f32 v0, v0, v26
	v_fma_f32 v26, 0x3f116cb1, v48, -v60
	v_add_f32_e32 v10, v27, v10
	v_fma_f32 v27, 0x3df6dbef, v36, -v115
	s_delay_alu instid0(VALU_DEP_3) | instskip(SKIP_1) | instid1(VALU_DEP_3)
	v_dual_fmac_f32 v113, 0xbf7e222b, v43 :: v_dual_add_f32 v0, v26, v0
	v_fma_f32 v26, 0x3df6dbef, v34, -v52
	v_add_f32_e32 v10, v27, v10
	v_fma_f32 v27, 0xbf788fa5, v44, -v79
	s_delay_alu instid0(VALU_DEP_4)
	v_add_f32_e32 v23, v113, v23
	v_mul_u32_u24_e32 v34, 0x60, v30
	v_add_f32_e32 v0, v26, v0
	v_fma_f32 v26, 0xbeb58ec6, v36, -v53
	v_dual_add_f32 v10, v27, v10 :: v_dual_fmac_f32 v63, 0xbeedf032, v51
	v_fma_f32 v27, 0x3f116cb1, v45, -v81
	v_fma_f32 v36, 0xbf788fa5, v45, -v56
	s_delay_alu instid0(VALU_DEP_4) | instskip(SKIP_4) | instid1(VALU_DEP_4)
	v_add_f32_e32 v0, v26, v0
	v_fma_f32 v26, 0xbf3f9e67, v44, -v55
	v_add_f32_e32 v1, v1, v63
	v_add_f32_e32 v23, v116, v23
	v_add3_u32 v34, v40, v34, v41
	v_add_f32_e32 v26, v26, v0
	s_delay_alu instid0(VALU_DEP_4) | instskip(NEXT) | instid1(VALU_DEP_1)
	v_dual_add_f32 v1, v62, v1 :: v_dual_add_f32 v0, v27, v10
	v_dual_add_f32 v26, v36, v26 :: v_dual_add_f32 v1, v54, v1
	s_delay_alu instid0(VALU_DEP_1) | instskip(NEXT) | instid1(VALU_DEP_1)
	v_add_f32_e32 v1, v57, v1
	v_add_f32_e32 v35, v58, v1
	;; [unrolled: 1-line block ×3, first 2 shown]
	s_delay_alu instid0(VALU_DEP_2)
	v_add_f32_e32 v27, v59, v35
	ds_store_2addr_b64 v34, v[4:5], v[19:20] offset1:1
	ds_store_2addr_b64 v34, v[17:18], v[15:16] offset0:2 offset1:3
	ds_store_2addr_b64 v34, v[13:14], v[8:9] offset0:4 offset1:5
	;; [unrolled: 1-line block ×5, first 2 shown]
	ds_store_b64 v34, v[26:27] offset:96
.LBB0_15:
	s_wait_alu 0xfffe
	s_or_b32 exec_lo, exec_lo, s1
	v_add_nc_u32_e32 v34, -13, v30
	v_cmp_gt_u32_e64 s0, 13, v30
	v_mov_b32_e32 v36, 0
	s_load_b64 s[2:3], s[2:3], 0x0
	global_wb scope:SCOPE_SE
	s_wait_dscnt 0x0
	s_wait_kmcnt 0x0
	s_barrier_signal -1
	v_cndmask_b32_e64 v51, v34, v30, s0
	s_barrier_wait -1
	global_inv scope:SCOPE_SE
	v_mul_i32_i24_e32 v35, 10, v51
	s_delay_alu instid0(VALU_DEP_1) | instskip(NEXT) | instid1(VALU_DEP_1)
	v_lshlrev_b64_e32 v[0:1], 3, v[35:36]
	v_add_co_u32 v0, s1, s8, v0
	s_wait_alu 0xf1ff
	s_delay_alu instid0(VALU_DEP_2)
	v_add_co_ci_u32_e64 v1, s1, s9, v1, s1
	v_cmp_lt_u32_e64 s1, 12, v30
	s_clause 0x4
	global_load_b128 v[16:19], v[0:1], off
	global_load_b128 v[12:15], v[0:1], off offset:16
	global_load_b128 v[8:11], v[0:1], off offset:32
	;; [unrolled: 1-line block ×4, first 2 shown]
	ds_load_2addr_b64 v[24:27], v38 offset0:26 offset1:52
	ds_load_2addr_b64 v[43:46], v38 offset0:78 offset1:104
	s_wait_alu 0xf1ff
	v_cndmask_b32_e64 v0, 0, 0x478, s1
	ds_load_2addr_b32 v[55:56], v42 offset0:4 offset1:5
	ds_load_2addr_b64 v[47:50], v38 offset0:156 offset1:182
	v_lshlrev_b32_e32 v42, 3, v51
	v_add_nc_u32_e32 v35, 0, v0
	ds_load_2addr_b64 v[51:54], v38 offset0:208 offset1:234
	ds_load_b64 v[0:1], v31
	ds_load_b64 v[57:58], v38 offset:2080
	global_wb scope:SCOPE_SE
	s_wait_loadcnt_dscnt 0x0
	s_barrier_signal -1
	s_barrier_wait -1
	v_add3_u32 v35, v35, v42, v41
	global_inv scope:SCOPE_SE
	v_dual_mul_f32 v42, v19, v27 :: v_dual_mul_f32 v59, v13, v44
	v_dual_mul_f32 v19, v19, v26 :: v_dual_mul_f32 v62, v48, v11
	;; [unrolled: 1-line block ×3, first 2 shown]
	v_mul_f32_e32 v41, v17, v25
	v_dual_mul_f32 v13, v13, v43 :: v_dual_mul_f32 v60, v15, v46
	v_dual_mul_f32 v15, v15, v45 :: v_dual_mul_f32 v64, v52, v7
	v_dual_mul_f32 v63, v50, v5 :: v_dual_fmac_f32 v62, v47, v10
	v_mul_f32_e32 v5, v49, v5
	v_dual_mul_f32 v7, v51, v7 :: v_dual_fmac_f32 v66, v57, v22
	v_fmac_f32_e32 v61, v8, v55
	v_fmac_f32_e32 v41, v16, v24
	;; [unrolled: 1-line block ×3, first 2 shown]
	v_fma_f32 v12, v12, v44, -v13
	v_fma_f32 v13, v14, v46, -v15
	v_dual_fmac_f32 v63, v49, v4 :: v_dual_fmac_f32 v64, v51, v6
	v_fma_f32 v4, v50, v4, -v5
	v_fma_f32 v5, v52, v6, -v7
	v_dual_add_f32 v46, v61, v62 :: v_dual_mul_f32 v65, v54, v21
	v_add_f32_e32 v6, v41, v0
	v_mul_f32_e32 v17, v17, v24
	v_dual_mul_f32 v9, v9, v55 :: v_dual_fmac_f32 v42, v18, v26
	v_mul_f32_e32 v21, v53, v21
	v_dual_fmac_f32 v65, v53, v20 :: v_dual_sub_f32 v26, v12, v5
	v_mul_f32_e32 v23, v57, v23
	v_dual_mul_f32 v11, v47, v11 :: v_dual_fmac_f32 v60, v14, v45
	v_fma_f32 v16, v16, v25, -v17
	v_fma_f32 v17, v18, v27, -v19
	s_delay_alu instid0(VALU_DEP_4)
	v_fma_f32 v22, v58, v22, -v23
	v_add_f32_e32 v6, v6, v42
	v_fma_f32 v20, v54, v20, -v21
	v_fma_f32 v8, v56, v8, -v9
	;; [unrolled: 1-line block ×3, first 2 shown]
	v_add_f32_e32 v7, v16, v1
	v_dual_add_f32 v11, v16, v22 :: v_dual_sub_f32 v44, v13, v4
	v_dual_sub_f32 v15, v16, v22 :: v_dual_add_f32 v18, v17, v20
	v_add_f32_e32 v10, v41, v66
	v_sub_f32_e32 v14, v41, v66
	v_add_f32_e32 v16, v42, v65
	v_dual_sub_f32 v19, v42, v65 :: v_dual_sub_f32 v48, v61, v62
	v_dual_sub_f32 v21, v17, v20 :: v_dual_mul_f32 v50, 0x3ed4b147, v11
	v_add_f32_e32 v24, v12, v5
	v_dual_add_f32 v27, v60, v63 :: v_dual_mul_f32 v56, 0x3ed4b147, v18
	v_dual_add_f32 v41, v13, v4 :: v_dual_mul_f32 v58, 0xbf27a4f4, v18
	v_dual_sub_f32 v43, v60, v63 :: v_dual_mul_f32 v68, 0xbf75a155, v18
	v_dual_sub_f32 v45, v8, v9 :: v_dual_mul_f32 v70, 0xbe11bafb, v18
	v_dual_add_f32 v47, v8, v9 :: v_dual_mul_f32 v18, 0x3f575c64, v18
	v_dual_add_f32 v7, v7, v17 :: v_dual_mul_f32 v72, 0xbe11bafb, v24
	v_mul_f32_e32 v42, 0x3f575c64, v11
	v_mul_f32_e32 v17, 0xbf0a6770, v15
	v_dual_add_f32 v23, v59, v64 :: v_dual_mul_f32 v52, 0xbe11bafb, v11
	v_dual_sub_f32 v25, v59, v64 :: v_dual_mul_f32 v54, 0xbf27a4f4, v11
	v_mul_f32_e32 v49, 0xbf68dda4, v15
	v_mul_f32_e32 v51, 0xbf7d64f0, v15
	;; [unrolled: 1-line block ×3, first 2 shown]
	v_dual_mul_f32 v11, 0xbf75a155, v11 :: v_dual_mul_f32 v74, 0xbf75a155, v24
	v_dual_mul_f32 v55, 0xbf68dda4, v21 :: v_dual_add_f32 v6, v6, v59
	v_mul_f32_e32 v57, 0xbf4178ce, v21
	s_delay_alu instid0(VALU_DEP_3)
	v_dual_mul_f32 v67, 0x3e903f40, v21 :: v_dual_fmamk_f32 v102, v14, 0x3e903f40, v11
	v_dual_mul_f32 v69, 0x3f7d64f0, v21 :: v_dual_fmamk_f32 v98, v14, 0x3f7d64f0, v52
	v_mul_f32_e32 v21, 0x3f0a6770, v21
	v_mul_f32_e32 v76, 0x3ed4b147, v24
	v_dual_mul_f32 v77, 0xbf0a6770, v26 :: v_dual_fmamk_f32 v110, v19, 0xbf0a6770, v18
	v_dual_mul_f32 v80, 0xbf27a4f4, v41 :: v_dual_add_f32 v7, v7, v12
	v_dual_mul_f32 v88, 0x3f0a6770, v45 :: v_dual_fmamk_f32 v59, v14, 0x3f0a6770, v42
	v_mul_f32_e32 v93, 0xbf27a4f4, v47
	v_fmac_f32_e32 v42, 0xbf0a6770, v14
	v_fmamk_f32 v12, v10, 0x3f575c64, v17
	v_fma_f32 v17, 0x3f575c64, v10, -v17
	v_fmac_f32_e32 v18, 0x3f0a6770, v19
	v_dual_mul_f32 v78, 0x3f575c64, v24 :: v_dual_fmamk_f32 v109, v16, 0x3f575c64, v21
	v_mul_f32_e32 v24, 0xbf27a4f4, v24
	v_dual_mul_f32 v15, 0xbe903f40, v15 :: v_dual_fmamk_f32 v106, v19, 0xbe903f40, v68
	v_dual_mul_f32 v71, 0xbf7d64f0, v26 :: v_dual_fmamk_f32 v108, v19, 0xbf7d64f0, v70
	v_dual_mul_f32 v73, 0x3e903f40, v26 :: v_dual_fmac_f32 v68, 0x3e903f40, v19
	v_mul_f32_e32 v75, 0x3f68dda4, v26
	v_dual_mul_f32 v26, 0xbf4178ce, v26 :: v_dual_mul_f32 v79, 0xbf4178ce, v44
	v_dual_mul_f32 v81, 0x3f7d64f0, v44 :: v_dual_fmac_f32 v70, 0x3f7d64f0, v19
	v_mul_f32_e32 v82, 0xbe11bafb, v41
	v_mul_f32_e32 v83, 0xbf0a6770, v44
	v_dual_mul_f32 v84, 0x3f575c64, v41 :: v_dual_fmamk_f32 v115, v23, 0x3f575c64, v77
	v_dual_mul_f32 v85, 0xbe903f40, v44 :: v_dual_fmamk_f32 v112, v25, 0xbe903f40, v74
	v_dual_mul_f32 v86, 0xbf75a155, v41 :: v_dual_mul_f32 v91, 0xbf75a155, v47
	v_mul_f32_e32 v44, 0x3f68dda4, v44
	v_mul_f32_e32 v41, 0x3ed4b147, v41
	;; [unrolled: 1-line block ×5, first 2 shown]
	v_fmamk_f32 v96, v14, 0x3f68dda4, v50
	v_fmac_f32_e32 v50, 0xbf68dda4, v14
	v_dual_mul_f32 v94, 0x3ed4b147, v47 :: v_dual_fmamk_f32 v95, v10, 0x3ed4b147, v49
	v_fma_f32 v49, 0x3ed4b147, v10, -v49
	v_fmac_f32_e32 v52, 0xbf7d64f0, v14
	v_fmamk_f32 v99, v10, 0xbf27a4f4, v53
	v_dual_fmamk_f32 v100, v14, 0x3f4178ce, v54 :: v_dual_fmamk_f32 v131, v48, 0x3f4178ce, v93
	v_fma_f32 v53, 0xbf27a4f4, v10, -v53
	v_fmac_f32_e32 v54, 0xbf4178ce, v14
	v_dual_fmac_f32 v11, 0xbe903f40, v14 :: v_dual_add_f32 v42, v42, v1
	v_fmamk_f32 v14, v16, 0x3ed4b147, v55
	v_fma_f32 v55, 0x3ed4b147, v16, -v55
	v_dual_fmamk_f32 v103, v16, 0xbf27a4f4, v57 :: v_dual_add_f32 v50, v50, v1
	v_fma_f32 v57, 0xbf27a4f4, v16, -v57
	v_fmamk_f32 v105, v16, 0xbf75a155, v67
	v_fma_f32 v67, 0xbf75a155, v16, -v67
	v_dual_fmamk_f32 v107, v16, 0xbe11bafb, v69 :: v_dual_add_f32 v54, v54, v1
	v_fma_f32 v69, 0xbe11bafb, v16, -v69
	v_fma_f32 v16, 0x3f575c64, v16, -v21
	v_dual_fmamk_f32 v21, v25, 0x3f7d64f0, v72 :: v_dual_add_f32 v6, v6, v60
	v_fmamk_f32 v116, v25, 0x3f0a6770, v78
	v_fmac_f32_e32 v78, 0xbf0a6770, v25
	v_dual_mul_f32 v92, 0x3f575c64, v47 :: v_dual_fmamk_f32 v121, v27, 0x3f575c64, v83
	v_mul_f32_e32 v47, 0xbe11bafb, v47
	v_dual_mul_f32 v45, 0xbf7d64f0, v45 :: v_dual_fmamk_f32 v120, v43, 0xbf7d64f0, v82
	v_dual_fmamk_f32 v118, v25, 0x3f4178ce, v24 :: v_dual_add_f32 v7, v7, v13
	v_add_f32_e32 v17, v17, v0
	v_dual_fmamk_f32 v97, v10, 0xbe11bafb, v51 :: v_dual_add_f32 v12, v12, v0
	v_fma_f32 v51, 0xbe11bafb, v10, -v51
	v_fmamk_f32 v101, v10, 0xbf75a155, v15
	v_fma_f32 v10, 0xbf75a155, v10, -v15
	v_fmamk_f32 v15, v19, 0x3f68dda4, v56
	v_dual_fmac_f32 v56, 0xbf68dda4, v19 :: v_dual_fmamk_f32 v125, v43, 0xbf68dda4, v41
	v_fmac_f32_e32 v72, 0xbf7d64f0, v25
	v_fmamk_f32 v111, v23, 0xbf75a155, v73
	v_fma_f32 v73, 0xbf75a155, v23, -v73
	v_dual_fmac_f32 v74, 0x3e903f40, v25 :: v_dual_add_f32 v49, v49, v0
	v_dual_fmamk_f32 v113, v23, 0x3ed4b147, v75 :: v_dual_fmamk_f32 v128, v46, 0x3ed4b147, v90
	v_fmamk_f32 v114, v25, 0xbf68dda4, v76
	v_fma_f32 v75, 0x3ed4b147, v23, -v75
	v_dual_fmac_f32 v76, 0x3f68dda4, v25 :: v_dual_add_f32 v51, v51, v0
	v_fma_f32 v77, 0x3f575c64, v23, -v77
	v_fmamk_f32 v117, v23, 0xbf27a4f4, v26
	v_dual_fmac_f32 v24, 0xbf4178ce, v25 :: v_dual_fmac_f32 v93, 0xbf4178ce, v48
	v_fmamk_f32 v119, v27, 0xbe11bafb, v81
	v_fma_f32 v81, 0xbe11bafb, v27, -v81
	v_dual_fmac_f32 v82, 0x3f7d64f0, v43 :: v_dual_fmamk_f32 v133, v48, 0x3f7d64f0, v47
	v_dual_fmamk_f32 v122, v43, 0x3f0a6770, v84 :: v_dual_add_f32 v13, v102, v1
	v_fma_f32 v83, 0x3f575c64, v27, -v83
	v_fmac_f32_e32 v84, 0xbf0a6770, v43
	v_fmamk_f32 v123, v27, 0xbf75a155, v85
	v_fma_f32 v85, 0xbf75a155, v27, -v85
	v_fmac_f32_e32 v41, 0x3f68dda4, v43
	v_fmamk_f32 v104, v19, 0x3f4178ce, v58
	v_fmac_f32_e32 v58, 0xbf4178ce, v19
	v_dual_fmamk_f32 v19, v23, 0xbe11bafb, v71 :: v_dual_add_f32 v52, v52, v1
	v_fma_f32 v71, 0xbe11bafb, v23, -v71
	v_fma_f32 v23, 0xbf27a4f4, v23, -v26
	v_dual_fmamk_f32 v25, v27, 0xbf27a4f4, v79 :: v_dual_add_f32 v6, v6, v61
	v_dual_fmamk_f32 v26, v43, 0x3f4178ce, v80 :: v_dual_add_f32 v53, v53, v0
	v_fma_f32 v79, 0xbf27a4f4, v27, -v79
	v_fmac_f32_e32 v80, 0xbf4178ce, v43
	v_fmamk_f32 v124, v27, 0x3ed4b147, v44
	v_fma_f32 v27, 0x3ed4b147, v27, -v44
	v_fmamk_f32 v44, v43, 0x3e903f40, v86
	v_fmac_f32_e32 v86, 0xbe903f40, v43
	v_fmamk_f32 v43, v46, 0xbf75a155, v87
	v_fma_f32 v87, 0xbf75a155, v46, -v87
	v_dual_fmamk_f32 v126, v46, 0x3f575c64, v88 :: v_dual_add_f32 v7, v7, v8
	v_fma_f32 v88, 0x3f575c64, v46, -v88
	v_fmamk_f32 v127, v46, 0xbf27a4f4, v89
	v_fma_f32 v89, 0xbf27a4f4, v46, -v89
	v_fma_f32 v90, 0x3ed4b147, v46, -v90
	v_fmamk_f32 v129, v46, 0xbe11bafb, v45
	v_fma_f32 v45, 0xbe11bafb, v46, -v45
	v_fmamk_f32 v46, v48, 0x3e903f40, v91
	v_fmac_f32_e32 v91, 0xbe903f40, v48
	v_fmamk_f32 v130, v48, 0xbf0a6770, v92
	v_fmac_f32_e32 v92, 0x3f0a6770, v48
	v_dual_fmamk_f32 v132, v48, 0xbf68dda4, v94 :: v_dual_add_f32 v53, v69, v53
	v_dual_fmac_f32 v94, 0x3f68dda4, v48 :: v_dual_add_f32 v13, v110, v13
	v_dual_fmac_f32 v47, 0xbf7d64f0, v48 :: v_dual_add_f32 v48, v59, v1
	v_add_f32_e32 v59, v95, v0
	v_dual_add_f32 v95, v96, v1 :: v_dual_add_f32 v96, v97, v0
	v_dual_add_f32 v97, v98, v1 :: v_dual_add_f32 v98, v99, v0
	;; [unrolled: 1-line block ×3, first 2 shown]
	v_add_f32_e32 v0, v10, v0
	v_dual_add_f32 v8, v14, v12 :: v_dual_add_f32 v1, v11, v1
	v_add_f32_e32 v10, v15, v48
	v_dual_add_f32 v11, v55, v17 :: v_dual_add_f32 v12, v56, v42
	v_add_f32_e32 v14, v103, v59
	v_add_f32_e32 v15, v104, v95
	v_dual_add_f32 v17, v57, v49 :: v_dual_add_f32 v42, v58, v50
	v_dual_add_f32 v48, v105, v96 :: v_dual_add_f32 v49, v106, v97
	;; [unrolled: 1-line block ×6, first 2 shown]
	v_add_f32_e32 v56, v109, v100
	v_dual_add_f32 v0, v16, v0 :: v_dual_add_f32 v9, v21, v10
	v_add_f32_e32 v8, v19, v8
	v_dual_add_f32 v10, v71, v11 :: v_dual_add_f32 v11, v72, v12
	v_dual_add_f32 v12, v111, v14 :: v_dual_add_f32 v21, v76, v51
	;; [unrolled: 1-line block ×4, first 2 shown]
	v_add_f32_e32 v19, v75, v50
	v_dual_add_f32 v16, v74, v42 :: v_dual_add_f32 v51, v117, v56
	v_dual_add_f32 v42, v115, v52 :: v_dual_add_f32 v13, v118, v13
	;; [unrolled: 1-line block ×3, first 2 shown]
	v_add_f32_e32 v6, v6, v63
	v_add_f32_e32 v4, v7, v4
	;; [unrolled: 1-line block ×4, first 2 shown]
	v_dual_add_f32 v50, v78, v54 :: v_dual_add_f32 v1, v24, v1
	v_dual_add_f32 v8, v26, v9 :: v_dual_add_f32 v9, v79, v10
	;; [unrolled: 1-line block ×3, first 2 shown]
	v_add_f32_e32 v12, v120, v14
	v_dual_add_f32 v14, v81, v15 :: v_dual_add_f32 v23, v44, v48
	v_dual_add_f32 v15, v82, v16 :: v_dual_add_f32 v16, v121, v17
	v_add_f32_e32 v25, v86, v50
	v_dual_add_f32 v17, v122, v18 :: v_dual_add_f32 v18, v83, v19
	v_add_f32_e32 v41, v41, v1
	v_add_f32_e32 v19, v84, v21
	v_dual_add_f32 v21, v123, v42 :: v_dual_add_f32 v24, v85, v49
	v_add_f32_e32 v44, v6, v64
	v_add_f32_e32 v48, v4, v5
	v_dual_add_f32 v26, v124, v51 :: v_dual_add_f32 v1, v91, v10
	v_dual_add_f32 v27, v27, v0 :: v_dual_add_f32 v42, v125, v13
	;; [unrolled: 1-line block ×3, first 2 shown]
	v_add_f32_e32 v0, v87, v9
	v_dual_add_f32 v6, v126, v11 :: v_dual_add_f32 v11, v131, v17
	v_add_f32_e32 v7, v130, v12
	v_dual_add_f32 v9, v92, v15 :: v_dual_add_f32 v10, v127, v16
	v_add_f32_e32 v12, v89, v18
	v_add_f32_e32 v13, v93, v19
	v_add_f32_e32 v15, v132, v23
	v_dual_add_f32 v23, v44, v65 :: v_dual_add_f32 v16, v90, v24
	v_add_f32_e32 v24, v48, v20
	v_add_f32_e32 v8, v88, v14
	v_add_f32_e32 v14, v128, v21
	v_dual_add_f32 v21, v47, v41 :: v_dual_add_f32 v18, v129, v26
	v_add_f32_e32 v19, v133, v42
	v_dual_add_f32 v17, v94, v25 :: v_dual_add_f32 v20, v45, v27
	ds_store_2addr_b64 v35, v[6:7], v[10:11] offset0:26 offset1:39
	v_add_f32_e32 v6, v23, v66
	v_add_f32_e32 v7, v24, v22
	ds_store_2addr_b64 v35, v[14:15], v[18:19] offset0:52 offset1:65
	ds_store_2addr_b64 v35, v[20:21], v[16:17] offset0:78 offset1:91
	;; [unrolled: 1-line block ×3, first 2 shown]
	ds_store_b64 v35, v[0:1] offset:1040
	ds_store_2addr_b64 v35, v[6:7], v[4:5] offset1:13
	global_wb scope:SCOPE_SE
	s_wait_dscnt 0x0
	s_barrier_signal -1
	s_barrier_wait -1
	global_inv scope:SCOPE_SE
	ds_load_2addr_b64 v[12:15], v38 offset0:143 offset1:169
	ds_load_2addr_b64 v[4:7], v38 offset0:26 offset1:52
	;; [unrolled: 1-line block ×4, first 2 shown]
	ds_load_b64 v[20:21], v31
	ds_load_b64 v[22:23], v38 offset:1976
	s_and_saveexec_b32 s1, s0
	s_cbranch_execz .LBB0_17
; %bb.16:
	v_add_nc_u32_e32 v0, 0x400, v38
	v_add_nc_u32_e32 v34, 0x82, v30
	ds_load_2addr_b64 v[0:3], v0 offset0:2 offset1:145
.LBB0_17:
	s_wait_alu 0xfffe
	s_or_b32 exec_lo, exec_lo, s1
	v_mov_b32_e32 v31, v36
	s_delay_alu instid0(VALU_DEP_1) | instskip(SKIP_1) | instid1(VALU_DEP_2)
	v_lshlrev_b64_e32 v[24:25], 3, v[30:31]
	v_lshl_add_u32 v31, v39, 3, v40
	v_add_co_u32 v24, s1, s8, v24
	s_wait_alu 0xf1ff
	s_delay_alu instid0(VALU_DEP_3)
	v_add_co_ci_u32_e64 v25, s1, s9, v25, s1
	s_clause 0x4
	global_load_b64 v[26:27], v[24:25], off offset:1040
	global_load_b64 v[35:36], v[24:25], off offset:1248
	;; [unrolled: 1-line block ×5, first 2 shown]
	global_wb scope:SCOPE_SE
	s_wait_loadcnt_dscnt 0x0
	s_barrier_signal -1
	s_barrier_wait -1
	global_inv scope:SCOPE_SE
	v_dual_mul_f32 v39, v27, v13 :: v_dual_mul_f32 v40, v36, v15
	v_dual_mul_f32 v27, v27, v12 :: v_dual_mul_f32 v36, v36, v14
	;; [unrolled: 1-line block ×3, first 2 shown]
	v_mul_f32_e32 v42, v42, v16
	v_dual_mul_f32 v44, v44, v18 :: v_dual_mul_f32 v47, v25, v23
	v_dual_fmac_f32 v39, v26, v12 :: v_dual_fmac_f32 v40, v35, v14
	v_mul_f32_e32 v25, v25, v22
	v_fma_f32 v13, v26, v13, -v27
	v_fma_f32 v15, v35, v15, -v36
	s_delay_alu instid0(VALU_DEP_4) | instskip(SKIP_3) | instid1(VALU_DEP_4)
	v_dual_sub_f32 v12, v20, v39 :: v_dual_fmac_f32 v45, v41, v16
	v_fmac_f32_e32 v46, v43, v18
	v_fma_f32 v17, v41, v17, -v42
	v_fma_f32 v19, v43, v19, -v44
	v_dual_fmac_f32 v47, v24, v22 :: v_dual_sub_f32 v16, v6, v45
	v_fma_f32 v23, v24, v23, -v25
	v_dual_sub_f32 v13, v21, v13 :: v_dual_sub_f32 v14, v4, v40
	v_dual_sub_f32 v15, v5, v15 :: v_dual_sub_f32 v18, v8, v46
	s_delay_alu instid0(VALU_DEP_4)
	v_dual_sub_f32 v17, v7, v17 :: v_dual_sub_f32 v22, v10, v47
	v_sub_f32_e32 v19, v9, v19
	v_sub_f32_e32 v23, v11, v23
	v_fma_f32 v20, v20, 2.0, -v12
	v_fma_f32 v21, v21, 2.0, -v13
	;; [unrolled: 1-line block ×10, first 2 shown]
	ds_store_2addr_b64 v31, v[14:15], v[16:17] offset0:169 offset1:195
	ds_store_2addr_b64 v38, v[20:21], v[4:5] offset1:26
	ds_store_2addr_b64 v38, v[6:7], v[8:9] offset0:52 offset1:78
	ds_store_2addr_b64 v38, v[10:11], v[12:13] offset0:104 offset1:143
	;; [unrolled: 1-line block ×3, first 2 shown]
	s_and_saveexec_b32 s1, s0
	s_cbranch_execz .LBB0_19
; %bb.18:
	v_mov_b32_e32 v35, 0
	s_delay_alu instid0(VALU_DEP_1) | instskip(NEXT) | instid1(VALU_DEP_1)
	v_lshlrev_b64_e32 v[4:5], 3, v[34:35]
	v_add_co_u32 v4, s0, s8, v4
	s_wait_alu 0xf1ff
	s_delay_alu instid0(VALU_DEP_2) | instskip(SKIP_4) | instid1(VALU_DEP_2)
	v_add_co_ci_u32_e64 v5, s0, s9, v5, s0
	global_load_b64 v[4:5], v[4:5], off offset:1040
	s_wait_loadcnt 0x0
	v_mul_f32_e32 v6, v2, v5
	v_mul_f32_e32 v5, v3, v5
	v_fma_f32 v3, v3, v4, -v6
	s_delay_alu instid0(VALU_DEP_2) | instskip(NEXT) | instid1(VALU_DEP_1)
	v_dual_fmac_f32 v5, v2, v4 :: v_dual_add_nc_u32 v4, 0x400, v38
	v_dual_sub_f32 v3, v1, v3 :: v_dual_sub_f32 v2, v0, v5
	s_delay_alu instid0(VALU_DEP_1) | instskip(NEXT) | instid1(VALU_DEP_2)
	v_fma_f32 v1, v1, 2.0, -v3
	v_fma_f32 v0, v0, 2.0, -v2
	ds_store_2addr_b64 v4, v[0:1], v[2:3] offset0:2 offset1:145
.LBB0_19:
	s_wait_alu 0xfffe
	s_or_b32 exec_lo, exec_lo, s1
	global_wb scope:SCOPE_SE
	s_wait_dscnt 0x0
	s_barrier_signal -1
	s_barrier_wait -1
	global_inv scope:SCOPE_SE
	s_and_saveexec_b32 s0, vcc_lo
	s_cbranch_execz .LBB0_21
; %bb.20:
	v_mul_lo_u32 v0, s3, v32
	v_mul_lo_u32 v1, s2, v33
	v_mad_co_u64_u32 v[4:5], null, s2, v32, 0
	v_dual_mov_b32 v31, 0 :: v_dual_add_nc_u32 v10, 26, v30
	v_lshl_add_u32 v24, v30, 3, v37
	v_lshlrev_b64_e32 v[8:9], 3, v[28:29]
	s_delay_alu instid0(VALU_DEP_3)
	v_dual_mov_b32 v11, v31 :: v_dual_add_nc_u32 v12, 52, v30
	v_add3_u32 v5, v5, v1, v0
	ds_load_2addr_b64 v[0:3], v24 offset1:26
	v_lshlrev_b64_e32 v[16:17], 3, v[30:31]
	v_mov_b32_e32 v13, v31
	v_lshlrev_b64_e32 v[10:11], 3, v[10:11]
	v_lshlrev_b64_e32 v[14:15], 3, v[4:5]
	ds_load_2addr_b64 v[4:7], v24 offset0:52 offset1:78
	v_dual_mov_b32 v19, v31 :: v_dual_add_nc_u32 v18, 0x82, v30
	v_add_co_u32 v14, vcc_lo, s6, v14
	s_wait_alu 0xfffd
	v_add_co_ci_u32_e32 v15, vcc_lo, s7, v15, vcc_lo
	s_delay_alu instid0(VALU_DEP_2) | instskip(SKIP_1) | instid1(VALU_DEP_2)
	v_add_co_u32 v28, vcc_lo, v14, v8
	s_wait_alu 0xfffd
	v_add_co_ci_u32_e32 v29, vcc_lo, v15, v9, vcc_lo
	v_dual_mov_b32 v15, v31 :: v_dual_add_nc_u32 v14, 0x4e, v30
	v_lshlrev_b64_e32 v[8:9], 3, v[12:13]
	v_add_co_u32 v12, vcc_lo, v28, v16
	v_add_nc_u32_e32 v16, 0x68, v30
	s_wait_alu 0xfffd
	v_add_co_ci_u32_e32 v13, vcc_lo, v29, v17, vcc_lo
	v_add_co_u32 v10, vcc_lo, v28, v10
	v_lshlrev_b64_e32 v[14:15], 3, v[14:15]
	s_wait_alu 0xfffd
	v_add_co_ci_u32_e32 v11, vcc_lo, v29, v11, vcc_lo
	v_add_co_u32 v8, vcc_lo, v28, v8
	s_wait_alu 0xfffd
	v_add_co_ci_u32_e32 v9, vcc_lo, v29, v9, vcc_lo
	v_mov_b32_e32 v17, v31
	v_add_co_u32 v14, vcc_lo, v28, v14
	s_wait_alu 0xfffd
	v_add_co_ci_u32_e32 v15, vcc_lo, v29, v15, vcc_lo
	s_wait_dscnt 0x1
	s_clause 0x1
	global_store_b64 v[12:13], v[0:1], off
	global_store_b64 v[10:11], v[2:3], off
	s_wait_dscnt 0x0
	s_clause 0x1
	global_store_b64 v[8:9], v[4:5], off
	global_store_b64 v[14:15], v[6:7], off
	v_lshlrev_b64_e32 v[4:5], 3, v[16:17]
	v_dual_mov_b32 v9, v31 :: v_dual_add_nc_u32 v8, 0x9c, v30
	v_add_nc_u32_e32 v10, 0xb6, v30
	v_lshlrev_b64_e32 v[6:7], 3, v[18:19]
	v_mov_b32_e32 v11, v31
	v_add_co_u32 v12, vcc_lo, v28, v4
	v_lshlrev_b64_e32 v[8:9], 3, v[8:9]
	s_wait_alu 0xfffd
	v_add_co_ci_u32_e32 v13, vcc_lo, v29, v5, vcc_lo
	v_add_co_u32 v14, vcc_lo, v28, v6
	s_wait_alu 0xfffd
	v_add_co_ci_u32_e32 v15, vcc_lo, v29, v7, vcc_lo
	v_add_co_u32 v16, vcc_lo, v28, v8
	s_wait_alu 0xfffd
	v_add_co_ci_u32_e32 v17, vcc_lo, v29, v9, vcc_lo
	v_lshlrev_b64_e32 v[8:9], 3, v[10:11]
	v_add_nc_u32_e32 v10, 0xd0, v30
	ds_load_2addr_b64 v[0:3], v24 offset0:104 offset1:130
	ds_load_2addr_b64 v[4:7], v24 offset0:156 offset1:182
	v_add_nc_u32_e32 v18, 0xea, v30
	v_add_nc_u32_e32 v30, 0x104, v30
	v_add_co_u32 v20, vcc_lo, v28, v8
	s_wait_alu 0xfffd
	v_add_co_ci_u32_e32 v21, vcc_lo, v29, v9, vcc_lo
	v_lshlrev_b64_e32 v[22:23], 3, v[10:11]
	ds_load_2addr_b64 v[8:11], v24 offset0:208 offset1:234
	ds_load_b64 v[24:25], v24 offset:2080
	v_lshlrev_b64_e32 v[18:19], 3, v[18:19]
	v_lshlrev_b64_e32 v[26:27], 3, v[30:31]
	v_add_co_u32 v22, vcc_lo, v28, v22
	s_wait_alu 0xfffd
	v_add_co_ci_u32_e32 v23, vcc_lo, v29, v23, vcc_lo
	s_delay_alu instid0(VALU_DEP_4)
	v_add_co_u32 v18, vcc_lo, v28, v18
	s_wait_alu 0xfffd
	v_add_co_ci_u32_e32 v19, vcc_lo, v29, v19, vcc_lo
	v_add_co_u32 v26, vcc_lo, v28, v26
	s_wait_alu 0xfffd
	v_add_co_ci_u32_e32 v27, vcc_lo, v29, v27, vcc_lo
	s_wait_dscnt 0x3
	s_clause 0x1
	global_store_b64 v[12:13], v[0:1], off
	global_store_b64 v[14:15], v[2:3], off
	s_wait_dscnt 0x2
	s_clause 0x1
	global_store_b64 v[16:17], v[4:5], off
	global_store_b64 v[20:21], v[6:7], off
	;; [unrolled: 4-line block ×3, first 2 shown]
	s_wait_dscnt 0x0
	global_store_b64 v[26:27], v[24:25], off
.LBB0_21:
	s_nop 0
	s_sendmsg sendmsg(MSG_DEALLOC_VGPRS)
	s_endpgm
	.section	.rodata,"a",@progbits
	.p2align	6, 0x0
	.amdhsa_kernel fft_rtc_back_len286_factors_13_11_2_wgs_52_tpt_26_sp_op_CI_CI_unitstride_sbrr_dirReg
		.amdhsa_group_segment_fixed_size 0
		.amdhsa_private_segment_fixed_size 0
		.amdhsa_kernarg_size 104
		.amdhsa_user_sgpr_count 2
		.amdhsa_user_sgpr_dispatch_ptr 0
		.amdhsa_user_sgpr_queue_ptr 0
		.amdhsa_user_sgpr_kernarg_segment_ptr 1
		.amdhsa_user_sgpr_dispatch_id 0
		.amdhsa_user_sgpr_private_segment_size 0
		.amdhsa_wavefront_size32 1
		.amdhsa_uses_dynamic_stack 0
		.amdhsa_enable_private_segment 0
		.amdhsa_system_sgpr_workgroup_id_x 1
		.amdhsa_system_sgpr_workgroup_id_y 0
		.amdhsa_system_sgpr_workgroup_id_z 0
		.amdhsa_system_sgpr_workgroup_info 0
		.amdhsa_system_vgpr_workitem_id 0
		.amdhsa_next_free_vgpr 134
		.amdhsa_next_free_sgpr 39
		.amdhsa_reserve_vcc 1
		.amdhsa_float_round_mode_32 0
		.amdhsa_float_round_mode_16_64 0
		.amdhsa_float_denorm_mode_32 3
		.amdhsa_float_denorm_mode_16_64 3
		.amdhsa_fp16_overflow 0
		.amdhsa_workgroup_processor_mode 1
		.amdhsa_memory_ordered 1
		.amdhsa_forward_progress 0
		.amdhsa_round_robin_scheduling 0
		.amdhsa_exception_fp_ieee_invalid_op 0
		.amdhsa_exception_fp_denorm_src 0
		.amdhsa_exception_fp_ieee_div_zero 0
		.amdhsa_exception_fp_ieee_overflow 0
		.amdhsa_exception_fp_ieee_underflow 0
		.amdhsa_exception_fp_ieee_inexact 0
		.amdhsa_exception_int_div_zero 0
	.end_amdhsa_kernel
	.text
.Lfunc_end0:
	.size	fft_rtc_back_len286_factors_13_11_2_wgs_52_tpt_26_sp_op_CI_CI_unitstride_sbrr_dirReg, .Lfunc_end0-fft_rtc_back_len286_factors_13_11_2_wgs_52_tpt_26_sp_op_CI_CI_unitstride_sbrr_dirReg
                                        ; -- End function
	.section	.AMDGPU.csdata,"",@progbits
; Kernel info:
; codeLenInByte = 8672
; NumSgprs: 41
; NumVgprs: 134
; ScratchSize: 0
; MemoryBound: 0
; FloatMode: 240
; IeeeMode: 1
; LDSByteSize: 0 bytes/workgroup (compile time only)
; SGPRBlocks: 5
; VGPRBlocks: 16
; NumSGPRsForWavesPerEU: 41
; NumVGPRsForWavesPerEU: 134
; Occupancy: 10
; WaveLimiterHint : 1
; COMPUTE_PGM_RSRC2:SCRATCH_EN: 0
; COMPUTE_PGM_RSRC2:USER_SGPR: 2
; COMPUTE_PGM_RSRC2:TRAP_HANDLER: 0
; COMPUTE_PGM_RSRC2:TGID_X_EN: 1
; COMPUTE_PGM_RSRC2:TGID_Y_EN: 0
; COMPUTE_PGM_RSRC2:TGID_Z_EN: 0
; COMPUTE_PGM_RSRC2:TIDIG_COMP_CNT: 0
	.text
	.p2alignl 7, 3214868480
	.fill 96, 4, 3214868480
	.type	__hip_cuid_76215c906ec70452,@object ; @__hip_cuid_76215c906ec70452
	.section	.bss,"aw",@nobits
	.globl	__hip_cuid_76215c906ec70452
__hip_cuid_76215c906ec70452:
	.byte	0                               ; 0x0
	.size	__hip_cuid_76215c906ec70452, 1

	.ident	"AMD clang version 19.0.0git (https://github.com/RadeonOpenCompute/llvm-project roc-6.4.0 25133 c7fe45cf4b819c5991fe208aaa96edf142730f1d)"
	.section	".note.GNU-stack","",@progbits
	.addrsig
	.addrsig_sym __hip_cuid_76215c906ec70452
	.amdgpu_metadata
---
amdhsa.kernels:
  - .args:
      - .actual_access:  read_only
        .address_space:  global
        .offset:         0
        .size:           8
        .value_kind:     global_buffer
      - .offset:         8
        .size:           8
        .value_kind:     by_value
      - .actual_access:  read_only
        .address_space:  global
        .offset:         16
        .size:           8
        .value_kind:     global_buffer
      - .actual_access:  read_only
        .address_space:  global
        .offset:         24
        .size:           8
        .value_kind:     global_buffer
      - .actual_access:  read_only
        .address_space:  global
        .offset:         32
        .size:           8
        .value_kind:     global_buffer
      - .offset:         40
        .size:           8
        .value_kind:     by_value
      - .actual_access:  read_only
        .address_space:  global
        .offset:         48
        .size:           8
        .value_kind:     global_buffer
      - .actual_access:  read_only
        .address_space:  global
        .offset:         56
        .size:           8
        .value_kind:     global_buffer
      - .offset:         64
        .size:           4
        .value_kind:     by_value
      - .actual_access:  read_only
        .address_space:  global
        .offset:         72
        .size:           8
        .value_kind:     global_buffer
      - .actual_access:  read_only
        .address_space:  global
        .offset:         80
        .size:           8
        .value_kind:     global_buffer
      - .actual_access:  read_only
        .address_space:  global
        .offset:         88
        .size:           8
        .value_kind:     global_buffer
      - .actual_access:  write_only
        .address_space:  global
        .offset:         96
        .size:           8
        .value_kind:     global_buffer
    .group_segment_fixed_size: 0
    .kernarg_segment_align: 8
    .kernarg_segment_size: 104
    .language:       OpenCL C
    .language_version:
      - 2
      - 0
    .max_flat_workgroup_size: 52
    .name:           fft_rtc_back_len286_factors_13_11_2_wgs_52_tpt_26_sp_op_CI_CI_unitstride_sbrr_dirReg
    .private_segment_fixed_size: 0
    .sgpr_count:     41
    .sgpr_spill_count: 0
    .symbol:         fft_rtc_back_len286_factors_13_11_2_wgs_52_tpt_26_sp_op_CI_CI_unitstride_sbrr_dirReg.kd
    .uniform_work_group_size: 1
    .uses_dynamic_stack: false
    .vgpr_count:     134
    .vgpr_spill_count: 0
    .wavefront_size: 32
    .workgroup_processor_mode: 1
amdhsa.target:   amdgcn-amd-amdhsa--gfx1201
amdhsa.version:
  - 1
  - 2
...

	.end_amdgpu_metadata
